;; amdgpu-corpus repo=ROCm/rocFFT kind=compiled arch=gfx1100 opt=O3
	.text
	.amdgcn_target "amdgcn-amd-amdhsa--gfx1100"
	.amdhsa_code_object_version 6
	.protected	fft_rtc_fwd_len504_factors_7_9_4_2_wgs_63_tpt_63_dp_ip_CI_unitstride_sbrr_C2R_dirReg ; -- Begin function fft_rtc_fwd_len504_factors_7_9_4_2_wgs_63_tpt_63_dp_ip_CI_unitstride_sbrr_C2R_dirReg
	.globl	fft_rtc_fwd_len504_factors_7_9_4_2_wgs_63_tpt_63_dp_ip_CI_unitstride_sbrr_C2R_dirReg
	.p2align	8
	.type	fft_rtc_fwd_len504_factors_7_9_4_2_wgs_63_tpt_63_dp_ip_CI_unitstride_sbrr_C2R_dirReg,@function
fft_rtc_fwd_len504_factors_7_9_4_2_wgs_63_tpt_63_dp_ip_CI_unitstride_sbrr_C2R_dirReg: ; @fft_rtc_fwd_len504_factors_7_9_4_2_wgs_63_tpt_63_dp_ip_CI_unitstride_sbrr_C2R_dirReg
; %bb.0:
	s_clause 0x2
	s_load_b128 s[4:7], s[0:1], 0x0
	s_load_b64 s[8:9], s[0:1], 0x50
	s_load_b64 s[10:11], s[0:1], 0x18
	v_mul_u32_u24_e32 v1, 0x411, v0
	v_mov_b32_e32 v3, 0
	v_mov_b32_e32 v4, 0
	s_delay_alu instid0(VALU_DEP_3) | instskip(SKIP_1) | instid1(VALU_DEP_1)
	v_lshrrev_b32_e32 v2, 16, v1
	v_mov_b32_e32 v1, 0
	v_dual_mov_b32 v6, v1 :: v_dual_add_nc_u32 v5, s15, v2
	s_waitcnt lgkmcnt(0)
	v_cmp_lt_u64_e64 s2, s[6:7], 2
	s_delay_alu instid0(VALU_DEP_1)
	s_and_b32 vcc_lo, exec_lo, s2
	s_cbranch_vccnz .LBB0_8
; %bb.1:
	s_load_b64 s[2:3], s[0:1], 0x10
	v_mov_b32_e32 v3, 0
	s_add_u32 s12, s10, 8
	v_mov_b32_e32 v4, 0
	s_addc_u32 s13, s11, 0
	s_mov_b64 s[16:17], 1
	s_waitcnt lgkmcnt(0)
	s_add_u32 s14, s2, 8
	s_addc_u32 s15, s3, 0
.LBB0_2:                                ; =>This Inner Loop Header: Depth=1
	s_load_b64 s[18:19], s[14:15], 0x0
                                        ; implicit-def: $vgpr7_vgpr8
	s_mov_b32 s2, exec_lo
	s_waitcnt lgkmcnt(0)
	v_or_b32_e32 v2, s19, v6
	s_delay_alu instid0(VALU_DEP_1)
	v_cmpx_ne_u64_e32 0, v[1:2]
	s_xor_b32 s3, exec_lo, s2
	s_cbranch_execz .LBB0_4
; %bb.3:                                ;   in Loop: Header=BB0_2 Depth=1
	v_cvt_f32_u32_e32 v2, s18
	v_cvt_f32_u32_e32 v7, s19
	s_sub_u32 s2, 0, s18
	s_subb_u32 s20, 0, s19
	s_delay_alu instid0(VALU_DEP_1) | instskip(NEXT) | instid1(VALU_DEP_1)
	v_fmac_f32_e32 v2, 0x4f800000, v7
	v_rcp_f32_e32 v2, v2
	s_waitcnt_depctr 0xfff
	v_mul_f32_e32 v2, 0x5f7ffffc, v2
	s_delay_alu instid0(VALU_DEP_1) | instskip(NEXT) | instid1(VALU_DEP_1)
	v_mul_f32_e32 v7, 0x2f800000, v2
	v_trunc_f32_e32 v7, v7
	s_delay_alu instid0(VALU_DEP_1) | instskip(SKIP_1) | instid1(VALU_DEP_2)
	v_fmac_f32_e32 v2, 0xcf800000, v7
	v_cvt_u32_f32_e32 v7, v7
	v_cvt_u32_f32_e32 v2, v2
	s_delay_alu instid0(VALU_DEP_2) | instskip(NEXT) | instid1(VALU_DEP_2)
	v_mul_lo_u32 v8, s2, v7
	v_mul_hi_u32 v9, s2, v2
	v_mul_lo_u32 v10, s20, v2
	s_delay_alu instid0(VALU_DEP_2) | instskip(SKIP_1) | instid1(VALU_DEP_2)
	v_add_nc_u32_e32 v8, v9, v8
	v_mul_lo_u32 v9, s2, v2
	v_add_nc_u32_e32 v8, v8, v10
	s_delay_alu instid0(VALU_DEP_2) | instskip(NEXT) | instid1(VALU_DEP_2)
	v_mul_hi_u32 v10, v2, v9
	v_mul_lo_u32 v11, v2, v8
	v_mul_hi_u32 v12, v2, v8
	v_mul_hi_u32 v13, v7, v9
	v_mul_lo_u32 v9, v7, v9
	v_mul_hi_u32 v14, v7, v8
	v_mul_lo_u32 v8, v7, v8
	v_add_co_u32 v10, vcc_lo, v10, v11
	v_add_co_ci_u32_e32 v11, vcc_lo, 0, v12, vcc_lo
	s_delay_alu instid0(VALU_DEP_2) | instskip(NEXT) | instid1(VALU_DEP_2)
	v_add_co_u32 v9, vcc_lo, v10, v9
	v_add_co_ci_u32_e32 v9, vcc_lo, v11, v13, vcc_lo
	v_add_co_ci_u32_e32 v10, vcc_lo, 0, v14, vcc_lo
	s_delay_alu instid0(VALU_DEP_2) | instskip(NEXT) | instid1(VALU_DEP_2)
	v_add_co_u32 v8, vcc_lo, v9, v8
	v_add_co_ci_u32_e32 v9, vcc_lo, 0, v10, vcc_lo
	s_delay_alu instid0(VALU_DEP_2) | instskip(NEXT) | instid1(VALU_DEP_2)
	v_add_co_u32 v2, vcc_lo, v2, v8
	v_add_co_ci_u32_e32 v7, vcc_lo, v7, v9, vcc_lo
	s_delay_alu instid0(VALU_DEP_2) | instskip(SKIP_1) | instid1(VALU_DEP_3)
	v_mul_hi_u32 v8, s2, v2
	v_mul_lo_u32 v10, s20, v2
	v_mul_lo_u32 v9, s2, v7
	s_delay_alu instid0(VALU_DEP_1) | instskip(SKIP_1) | instid1(VALU_DEP_2)
	v_add_nc_u32_e32 v8, v8, v9
	v_mul_lo_u32 v9, s2, v2
	v_add_nc_u32_e32 v8, v8, v10
	s_delay_alu instid0(VALU_DEP_2) | instskip(NEXT) | instid1(VALU_DEP_2)
	v_mul_hi_u32 v10, v2, v9
	v_mul_lo_u32 v11, v2, v8
	v_mul_hi_u32 v12, v2, v8
	v_mul_hi_u32 v13, v7, v9
	v_mul_lo_u32 v9, v7, v9
	v_mul_hi_u32 v14, v7, v8
	v_mul_lo_u32 v8, v7, v8
	v_add_co_u32 v10, vcc_lo, v10, v11
	v_add_co_ci_u32_e32 v11, vcc_lo, 0, v12, vcc_lo
	s_delay_alu instid0(VALU_DEP_2) | instskip(NEXT) | instid1(VALU_DEP_2)
	v_add_co_u32 v9, vcc_lo, v10, v9
	v_add_co_ci_u32_e32 v9, vcc_lo, v11, v13, vcc_lo
	v_add_co_ci_u32_e32 v10, vcc_lo, 0, v14, vcc_lo
	s_delay_alu instid0(VALU_DEP_2) | instskip(NEXT) | instid1(VALU_DEP_2)
	v_add_co_u32 v8, vcc_lo, v9, v8
	v_add_co_ci_u32_e32 v9, vcc_lo, 0, v10, vcc_lo
	s_delay_alu instid0(VALU_DEP_2) | instskip(NEXT) | instid1(VALU_DEP_2)
	v_add_co_u32 v2, vcc_lo, v2, v8
	v_add_co_ci_u32_e32 v13, vcc_lo, v7, v9, vcc_lo
	s_delay_alu instid0(VALU_DEP_2) | instskip(SKIP_1) | instid1(VALU_DEP_3)
	v_mul_hi_u32 v14, v5, v2
	v_mad_u64_u32 v[9:10], null, v6, v2, 0
	v_mad_u64_u32 v[7:8], null, v5, v13, 0
	;; [unrolled: 1-line block ×3, first 2 shown]
	s_delay_alu instid0(VALU_DEP_2) | instskip(NEXT) | instid1(VALU_DEP_3)
	v_add_co_u32 v2, vcc_lo, v14, v7
	v_add_co_ci_u32_e32 v7, vcc_lo, 0, v8, vcc_lo
	s_delay_alu instid0(VALU_DEP_2) | instskip(NEXT) | instid1(VALU_DEP_2)
	v_add_co_u32 v2, vcc_lo, v2, v9
	v_add_co_ci_u32_e32 v2, vcc_lo, v7, v10, vcc_lo
	v_add_co_ci_u32_e32 v7, vcc_lo, 0, v12, vcc_lo
	s_delay_alu instid0(VALU_DEP_2) | instskip(NEXT) | instid1(VALU_DEP_2)
	v_add_co_u32 v2, vcc_lo, v2, v11
	v_add_co_ci_u32_e32 v9, vcc_lo, 0, v7, vcc_lo
	s_delay_alu instid0(VALU_DEP_2) | instskip(SKIP_1) | instid1(VALU_DEP_3)
	v_mul_lo_u32 v10, s19, v2
	v_mad_u64_u32 v[7:8], null, s18, v2, 0
	v_mul_lo_u32 v11, s18, v9
	s_delay_alu instid0(VALU_DEP_2) | instskip(NEXT) | instid1(VALU_DEP_2)
	v_sub_co_u32 v7, vcc_lo, v5, v7
	v_add3_u32 v8, v8, v11, v10
	s_delay_alu instid0(VALU_DEP_1) | instskip(NEXT) | instid1(VALU_DEP_1)
	v_sub_nc_u32_e32 v10, v6, v8
	v_subrev_co_ci_u32_e64 v10, s2, s19, v10, vcc_lo
	v_add_co_u32 v11, s2, v2, 2
	s_delay_alu instid0(VALU_DEP_1) | instskip(SKIP_3) | instid1(VALU_DEP_3)
	v_add_co_ci_u32_e64 v12, s2, 0, v9, s2
	v_sub_co_u32 v13, s2, v7, s18
	v_sub_co_ci_u32_e32 v8, vcc_lo, v6, v8, vcc_lo
	v_subrev_co_ci_u32_e64 v10, s2, 0, v10, s2
	v_cmp_le_u32_e32 vcc_lo, s18, v13
	s_delay_alu instid0(VALU_DEP_3) | instskip(SKIP_1) | instid1(VALU_DEP_4)
	v_cmp_eq_u32_e64 s2, s19, v8
	v_cndmask_b32_e64 v13, 0, -1, vcc_lo
	v_cmp_le_u32_e32 vcc_lo, s19, v10
	v_cndmask_b32_e64 v14, 0, -1, vcc_lo
	v_cmp_le_u32_e32 vcc_lo, s18, v7
	;; [unrolled: 2-line block ×3, first 2 shown]
	v_cndmask_b32_e64 v15, 0, -1, vcc_lo
	v_cmp_eq_u32_e32 vcc_lo, s19, v10
	s_delay_alu instid0(VALU_DEP_2) | instskip(SKIP_3) | instid1(VALU_DEP_3)
	v_cndmask_b32_e64 v7, v15, v7, s2
	v_cndmask_b32_e32 v10, v14, v13, vcc_lo
	v_add_co_u32 v13, vcc_lo, v2, 1
	v_add_co_ci_u32_e32 v14, vcc_lo, 0, v9, vcc_lo
	v_cmp_ne_u32_e32 vcc_lo, 0, v10
	s_delay_alu instid0(VALU_DEP_2) | instskip(NEXT) | instid1(VALU_DEP_4)
	v_cndmask_b32_e32 v8, v14, v12, vcc_lo
	v_cndmask_b32_e32 v10, v13, v11, vcc_lo
	v_cmp_ne_u32_e32 vcc_lo, 0, v7
	s_delay_alu instid0(VALU_DEP_2)
	v_dual_cndmask_b32 v7, v2, v10 :: v_dual_cndmask_b32 v8, v9, v8
.LBB0_4:                                ;   in Loop: Header=BB0_2 Depth=1
	s_and_not1_saveexec_b32 s2, s3
	s_cbranch_execz .LBB0_6
; %bb.5:                                ;   in Loop: Header=BB0_2 Depth=1
	v_cvt_f32_u32_e32 v2, s18
	s_sub_i32 s3, 0, s18
	s_delay_alu instid0(VALU_DEP_1) | instskip(SKIP_2) | instid1(VALU_DEP_1)
	v_rcp_iflag_f32_e32 v2, v2
	s_waitcnt_depctr 0xfff
	v_mul_f32_e32 v2, 0x4f7ffffe, v2
	v_cvt_u32_f32_e32 v2, v2
	s_delay_alu instid0(VALU_DEP_1) | instskip(NEXT) | instid1(VALU_DEP_1)
	v_mul_lo_u32 v7, s3, v2
	v_mul_hi_u32 v7, v2, v7
	s_delay_alu instid0(VALU_DEP_1) | instskip(NEXT) | instid1(VALU_DEP_1)
	v_add_nc_u32_e32 v2, v2, v7
	v_mul_hi_u32 v2, v5, v2
	s_delay_alu instid0(VALU_DEP_1) | instskip(SKIP_1) | instid1(VALU_DEP_2)
	v_mul_lo_u32 v7, v2, s18
	v_add_nc_u32_e32 v8, 1, v2
	v_sub_nc_u32_e32 v7, v5, v7
	s_delay_alu instid0(VALU_DEP_1) | instskip(SKIP_1) | instid1(VALU_DEP_2)
	v_subrev_nc_u32_e32 v9, s18, v7
	v_cmp_le_u32_e32 vcc_lo, s18, v7
	v_dual_cndmask_b32 v7, v7, v9 :: v_dual_cndmask_b32 v2, v2, v8
	s_delay_alu instid0(VALU_DEP_1) | instskip(NEXT) | instid1(VALU_DEP_2)
	v_cmp_le_u32_e32 vcc_lo, s18, v7
	v_add_nc_u32_e32 v8, 1, v2
	s_delay_alu instid0(VALU_DEP_1)
	v_dual_cndmask_b32 v7, v2, v8 :: v_dual_mov_b32 v8, v1
.LBB0_6:                                ;   in Loop: Header=BB0_2 Depth=1
	s_or_b32 exec_lo, exec_lo, s2
	s_load_b64 s[2:3], s[12:13], 0x0
	s_delay_alu instid0(VALU_DEP_1) | instskip(NEXT) | instid1(VALU_DEP_2)
	v_mul_lo_u32 v2, v8, s18
	v_mul_lo_u32 v11, v7, s19
	v_mad_u64_u32 v[9:10], null, v7, s18, 0
	s_add_u32 s16, s16, 1
	s_addc_u32 s17, s17, 0
	s_add_u32 s12, s12, 8
	s_addc_u32 s13, s13, 0
	;; [unrolled: 2-line block ×3, first 2 shown]
	s_delay_alu instid0(VALU_DEP_1) | instskip(SKIP_1) | instid1(VALU_DEP_2)
	v_add3_u32 v2, v10, v11, v2
	v_sub_co_u32 v9, vcc_lo, v5, v9
	v_sub_co_ci_u32_e32 v2, vcc_lo, v6, v2, vcc_lo
	s_waitcnt lgkmcnt(0)
	s_delay_alu instid0(VALU_DEP_2) | instskip(NEXT) | instid1(VALU_DEP_2)
	v_mul_lo_u32 v10, s3, v9
	v_mul_lo_u32 v2, s2, v2
	v_mad_u64_u32 v[5:6], null, s2, v9, v[3:4]
	v_cmp_ge_u64_e64 s2, s[16:17], s[6:7]
	s_delay_alu instid0(VALU_DEP_1) | instskip(NEXT) | instid1(VALU_DEP_2)
	s_and_b32 vcc_lo, exec_lo, s2
	v_add3_u32 v4, v10, v6, v2
	s_delay_alu instid0(VALU_DEP_3)
	v_mov_b32_e32 v3, v5
	s_cbranch_vccnz .LBB0_9
; %bb.7:                                ;   in Loop: Header=BB0_2 Depth=1
	v_dual_mov_b32 v5, v7 :: v_dual_mov_b32 v6, v8
	s_branch .LBB0_2
.LBB0_8:
	v_dual_mov_b32 v8, v6 :: v_dual_mov_b32 v7, v5
.LBB0_9:
	s_lshl_b64 s[2:3], s[6:7], 3
	v_mul_hi_u32 v5, 0x4104105, v0
	s_add_u32 s2, s10, s2
	s_addc_u32 s3, s11, s3
	s_load_b64 s[2:3], s[2:3], 0x0
	s_load_b64 s[0:1], s[0:1], 0x20
	s_waitcnt lgkmcnt(0)
	v_mul_lo_u32 v6, s2, v8
	v_mul_lo_u32 v9, s3, v7
	v_mad_u64_u32 v[1:2], null, s2, v7, v[3:4]
	v_mul_u32_u24_e32 v3, 63, v5
	v_cmp_gt_u64_e32 vcc_lo, s[0:1], v[7:8]
	s_delay_alu instid0(VALU_DEP_2) | instskip(NEXT) | instid1(VALU_DEP_4)
	v_sub_nc_u32_e32 v4, v0, v3
	v_add3_u32 v2, v9, v2, v6
	s_delay_alu instid0(VALU_DEP_2) | instskip(NEXT) | instid1(VALU_DEP_2)
	v_dual_mov_b32 v5, 0 :: v_dual_mov_b32 v36, v4
	v_lshlrev_b64 v[38:39], 4, v[1:2]
	s_and_saveexec_b32 s1, vcc_lo
	s_cbranch_execz .LBB0_13
; %bb.10:
	s_delay_alu instid0(VALU_DEP_2) | instskip(NEXT) | instid1(VALU_DEP_2)
	v_lshlrev_b64 v[0:1], 4, v[4:5]
	v_add_co_u32 v2, s0, s8, v38
	s_delay_alu instid0(VALU_DEP_1) | instskip(SKIP_1) | instid1(VALU_DEP_3)
	v_add_co_ci_u32_e64 v3, s0, s9, v39, s0
	v_lshl_add_u32 v40, v4, 4, 0
	v_add_co_u32 v0, s0, v2, v0
	s_delay_alu instid0(VALU_DEP_1) | instskip(SKIP_1) | instid1(VALU_DEP_2)
	v_add_co_ci_u32_e64 v1, s0, v3, v1, s0
	s_mov_b32 s2, exec_lo
	v_add_co_u32 v34, s0, 0x1000, v0
	s_delay_alu instid0(VALU_DEP_1)
	v_add_co_ci_u32_e64 v35, s0, 0, v1, s0
	s_clause 0x7
	global_load_b128 v[6:9], v[0:1], off
	global_load_b128 v[10:13], v[0:1], off offset:1008
	global_load_b128 v[14:17], v[0:1], off offset:2016
	;; [unrolled: 1-line block ×7, first 2 shown]
	v_dual_mov_b32 v0, v4 :: v_dual_mov_b32 v1, v5
	s_waitcnt vmcnt(7)
	ds_store_b128 v40, v[6:9]
	s_waitcnt vmcnt(6)
	ds_store_b128 v40, v[10:13] offset:1008
	s_waitcnt vmcnt(5)
	ds_store_b128 v40, v[14:17] offset:2016
	;; [unrolled: 2-line block ×7, first 2 shown]
	v_cmpx_eq_u32_e32 62, v4
	s_cbranch_execz .LBB0_12
; %bb.11:
	v_add_co_u32 v0, s0, 0x1000, v2
	s_delay_alu instid0(VALU_DEP_1)
	v_add_co_ci_u32_e64 v1, s0, 0, v3, s0
	v_mov_b32_e32 v2, 0
	v_mov_b32_e32 v4, 62
	global_load_b128 v[5:8], v[0:1], off offset:3968
	v_mov_b32_e32 v0, 62
	v_mov_b32_e32 v1, 0
	s_waitcnt vmcnt(0)
	ds_store_b128 v2, v[5:8] offset:8064
.LBB0_12:
	s_or_b32 exec_lo, exec_lo, s2
	v_dual_mov_b32 v36, v4 :: v_dual_mov_b32 v5, v1
	v_mov_b32_e32 v4, v0
.LBB0_13:
	s_or_b32 exec_lo, exec_lo, s1
	s_delay_alu instid0(VALU_DEP_2)
	v_lshlrev_b32_e32 v0, 4, v36
	s_waitcnt lgkmcnt(0)
	s_barrier
	buffer_gl0_inv
	v_lshlrev_b64 v[40:41], 4, v[4:5]
	v_add_nc_u32_e32 v92, 0, v0
	v_sub_nc_u32_e32 v10, 0, v0
	s_add_u32 s1, s4, 0x1f10
	s_addc_u32 s2, s5, 0
	s_mov_b32 s3, exec_lo
	ds_load_b64 v[6:7], v92
	ds_load_b64 v[8:9], v10 offset:8064
	s_waitcnt lgkmcnt(0)
	v_add_f64 v[0:1], v[6:7], v[8:9]
	v_add_f64 v[2:3], v[6:7], -v[8:9]
	v_cmpx_ne_u32_e32 0, v36
	s_xor_b32 s3, exec_lo, s3
	s_cbranch_execz .LBB0_15
; %bb.14:
	v_add_co_u32 v0, s0, s1, v40
	s_delay_alu instid0(VALU_DEP_1)
	v_add_co_ci_u32_e64 v1, s0, s2, v41, s0
	v_add_f64 v[13:14], v[6:7], v[8:9]
	v_add_f64 v[8:9], v[6:7], -v[8:9]
	global_load_b128 v[2:5], v[0:1], off
	ds_load_b64 v[0:1], v10 offset:8072
	ds_load_b64 v[11:12], v92 offset:8
	s_waitcnt lgkmcnt(0)
	v_add_f64 v[6:7], v[0:1], v[11:12]
	v_add_f64 v[0:1], v[11:12], -v[0:1]
	s_waitcnt vmcnt(0)
	v_fma_f64 v[11:12], v[8:9], v[4:5], v[13:14]
	v_fma_f64 v[13:14], -v[8:9], v[4:5], v[13:14]
	s_delay_alu instid0(VALU_DEP_3) | instskip(SKIP_1) | instid1(VALU_DEP_4)
	v_fma_f64 v[15:16], v[6:7], v[4:5], -v[0:1]
	v_fma_f64 v[17:18], v[6:7], v[4:5], v[0:1]
	v_fma_f64 v[0:1], -v[6:7], v[2:3], v[11:12]
	s_delay_alu instid0(VALU_DEP_4) | instskip(NEXT) | instid1(VALU_DEP_4)
	v_fma_f64 v[4:5], v[6:7], v[2:3], v[13:14]
	v_fma_f64 v[6:7], v[8:9], v[2:3], v[15:16]
	s_delay_alu instid0(VALU_DEP_4)
	v_fma_f64 v[2:3], v[8:9], v[2:3], v[17:18]
	ds_store_b128 v10, v[4:7] offset:8064
.LBB0_15:
	s_and_not1_saveexec_b32 s0, s3
	s_cbranch_execz .LBB0_17
; %bb.16:
	v_mov_b32_e32 v8, 0
	ds_load_b128 v[4:7], v8 offset:4032
	s_waitcnt lgkmcnt(0)
	v_add_f64 v[4:5], v[4:5], v[4:5]
	v_mul_f64 v[6:7], v[6:7], -2.0
	ds_store_b128 v8, v[4:7] offset:4032
.LBB0_17:
	s_or_b32 exec_lo, exec_lo, s0
	v_mov_b32_e32 v37, 0
	s_mov_b32 s6, 0xe976ee23
	s_mov_b32 s7, 0xbfe11646
	;; [unrolled: 1-line block ×4, first 2 shown]
	v_lshlrev_b64 v[42:43], 4, v[36:37]
	s_mov_b32 s11, 0x3fac98ee
	s_mov_b32 s19, 0x3fd5d0dc
	;; [unrolled: 1-line block ×5, first 2 shown]
	v_add_co_u32 v8, s0, s1, v42
	s_delay_alu instid0(VALU_DEP_1)
	v_add_co_ci_u32_e64 v9, s0, s2, v43, s0
	s_mov_b32 s2, 0x429ad128
	s_mov_b32 s3, 0x3febfeb5
	;; [unrolled: 1-line block ×3, first 2 shown]
	s_clause 0x1
	global_load_b128 v[4:7], v[8:9], off offset:1008
	global_load_b128 v[11:14], v[8:9], off offset:2016
	ds_store_b128 v92, v[0:3]
	ds_load_b128 v[0:3], v92 offset:1008
	ds_load_b128 v[15:18], v10 offset:7056
	global_load_b128 v[19:22], v[8:9], off offset:3024
	s_mov_b32 s1, 0x3fe948f6
	s_mov_b32 s16, 0x37c3f68c
	;; [unrolled: 1-line block ×6, first 2 shown]
	v_mad_u32_u24 v37, 0x60, v36, v92
	s_waitcnt lgkmcnt(0)
	v_add_f64 v[8:9], v[0:1], v[15:16]
	v_add_f64 v[23:24], v[17:18], v[2:3]
	v_add_f64 v[15:16], v[0:1], -v[15:16]
	v_add_f64 v[0:1], v[2:3], -v[17:18]
	s_waitcnt vmcnt(2)
	s_delay_alu instid0(VALU_DEP_2) | instskip(NEXT) | instid1(VALU_DEP_2)
	v_fma_f64 v[2:3], v[15:16], v[6:7], v[8:9]
	v_fma_f64 v[17:18], v[23:24], v[6:7], v[0:1]
	v_fma_f64 v[8:9], -v[15:16], v[6:7], v[8:9]
	v_fma_f64 v[25:26], v[23:24], v[6:7], -v[0:1]
	s_delay_alu instid0(VALU_DEP_4) | instskip(NEXT) | instid1(VALU_DEP_4)
	v_fma_f64 v[0:1], -v[23:24], v[4:5], v[2:3]
	v_fma_f64 v[2:3], v[15:16], v[4:5], v[17:18]
	s_delay_alu instid0(VALU_DEP_4) | instskip(NEXT) | instid1(VALU_DEP_4)
	v_fma_f64 v[6:7], v[23:24], v[4:5], v[8:9]
	v_fma_f64 v[8:9], v[15:16], v[4:5], v[25:26]
	ds_store_b128 v92, v[0:3] offset:1008
	ds_store_b128 v10, v[6:9] offset:7056
	ds_load_b128 v[0:3], v92 offset:2016
	ds_load_b128 v[4:7], v10 offset:6048
	s_waitcnt lgkmcnt(0)
	v_add_f64 v[8:9], v[0:1], v[4:5]
	v_add_f64 v[15:16], v[6:7], v[2:3]
	v_add_f64 v[17:18], v[0:1], -v[4:5]
	v_add_f64 v[0:1], v[2:3], -v[6:7]
	s_waitcnt vmcnt(1)
	s_delay_alu instid0(VALU_DEP_2) | instskip(NEXT) | instid1(VALU_DEP_2)
	v_fma_f64 v[2:3], v[17:18], v[13:14], v[8:9]
	v_fma_f64 v[4:5], v[15:16], v[13:14], v[0:1]
	v_fma_f64 v[6:7], -v[17:18], v[13:14], v[8:9]
	v_fma_f64 v[8:9], v[15:16], v[13:14], -v[0:1]
	s_delay_alu instid0(VALU_DEP_4) | instskip(NEXT) | instid1(VALU_DEP_4)
	v_fma_f64 v[0:1], -v[15:16], v[11:12], v[2:3]
	v_fma_f64 v[2:3], v[17:18], v[11:12], v[4:5]
	s_delay_alu instid0(VALU_DEP_4) | instskip(NEXT) | instid1(VALU_DEP_4)
	v_fma_f64 v[4:5], v[15:16], v[11:12], v[6:7]
	v_fma_f64 v[6:7], v[17:18], v[11:12], v[8:9]
	ds_store_b128 v92, v[0:3] offset:2016
	ds_store_b128 v10, v[4:7] offset:6048
	ds_load_b128 v[0:3], v92 offset:3024
	ds_load_b128 v[4:7], v10 offset:5040
	s_waitcnt lgkmcnt(0)
	v_add_f64 v[8:9], v[0:1], v[4:5]
	v_add_f64 v[11:12], v[6:7], v[2:3]
	v_add_f64 v[13:14], v[0:1], -v[4:5]
	v_add_f64 v[0:1], v[2:3], -v[6:7]
	s_waitcnt vmcnt(0)
	s_delay_alu instid0(VALU_DEP_2) | instskip(NEXT) | instid1(VALU_DEP_2)
	v_fma_f64 v[2:3], v[13:14], v[21:22], v[8:9]
	v_fma_f64 v[4:5], v[11:12], v[21:22], v[0:1]
	v_fma_f64 v[6:7], -v[13:14], v[21:22], v[8:9]
	v_fma_f64 v[8:9], v[11:12], v[21:22], -v[0:1]
	s_delay_alu instid0(VALU_DEP_4) | instskip(NEXT) | instid1(VALU_DEP_4)
	v_fma_f64 v[0:1], -v[11:12], v[19:20], v[2:3]
	v_fma_f64 v[2:3], v[13:14], v[19:20], v[4:5]
	s_delay_alu instid0(VALU_DEP_4) | instskip(NEXT) | instid1(VALU_DEP_4)
	v_fma_f64 v[4:5], v[11:12], v[19:20], v[6:7]
	v_fma_f64 v[6:7], v[13:14], v[19:20], v[8:9]
	ds_store_b128 v92, v[0:3] offset:3024
	ds_store_b128 v10, v[4:7] offset:5040
	s_waitcnt lgkmcnt(0)
	s_barrier
	buffer_gl0_inv
	s_barrier
	buffer_gl0_inv
	ds_load_b128 v[0:3], v92 offset:6912
	ds_load_b128 v[4:7], v92 offset:1152
	;; [unrolled: 1-line block ×12, first 2 shown]
	s_waitcnt lgkmcnt(10)
	v_add_f64 v[66:67], v[4:5], v[0:1]
	v_add_f64 v[68:69], v[6:7], v[2:3]
	s_waitcnt lgkmcnt(8)
	v_add_f64 v[70:71], v[8:9], v[12:13]
	v_add_f64 v[72:73], v[10:11], v[14:15]
	;; [unrolled: 3-line block ×4, first 2 shown]
	v_add_f64 v[8:9], v[8:9], -v[12:13]
	s_waitcnt lgkmcnt(2)
	v_add_f64 v[12:13], v[32:33], -v[52:53]
	v_add_f64 v[74:75], v[4:5], -v[0:1]
	;; [unrolled: 1-line block ×3, first 2 shown]
	v_add_f64 v[4:5], v[52:53], v[32:33]
	v_add_f64 v[10:11], v[54:55], v[34:35]
	v_add_f64 v[14:15], v[34:35], -v[54:55]
	s_waitcnt lgkmcnt(0)
	v_add_f64 v[32:33], v[58:59], v[62:63]
	v_add_f64 v[34:35], v[60:61], v[64:65]
	v_add_f64 v[88:89], v[6:7], -v[2:3]
	v_add_f64 v[56:57], v[16:17], -v[20:21]
	;; [unrolled: 1-line block ×7, first 2 shown]
	v_add_f64 v[76:77], v[70:71], v[66:67]
	v_add_f64 v[78:79], v[72:73], v[68:69]
	;; [unrolled: 1-line block ×4, first 2 shown]
	v_add_f64 v[84:85], v[12:13], -v[8:9]
	v_add_f64 v[86:87], v[8:9], -v[74:75]
	v_add_f64 v[8:9], v[12:13], v[8:9]
	v_add_f64 v[18:19], v[66:67], -v[4:5]
	v_add_f64 v[24:25], v[68:69], -v[10:11]
	v_add_f64 v[16:17], v[14:15], v[0:1]
	v_add_f64 v[90:91], v[4:5], -v[70:71]
	v_add_f64 v[60:61], v[14:15], -v[0:1]
	;; [unrolled: 1-line block ×8, first 2 shown]
	v_add_f64 v[97:98], v[20:21], v[58:59]
	v_add_f64 v[99:100], v[22:23], v[54:55]
	v_add_f64 v[26:27], v[4:5], v[76:77]
	v_add_f64 v[28:29], v[10:11], v[78:79]
	v_add_f64 v[10:11], v[10:11], -v[72:73]
	v_add_f64 v[76:77], v[44:45], -v[32:33]
	v_add_f64 v[30:31], v[32:33], v[80:81]
	v_add_f64 v[78:79], v[34:35], v[82:83]
	v_add_f64 v[80:81], v[48:49], -v[34:35]
	v_mul_f64 v[62:63], v[84:85], s[6:7]
	v_mul_f64 v[64:65], v[86:87], s[2:3]
	v_add_f64 v[82:83], v[56:57], -v[20:21]
	ds_load_b128 v[0:3], v92
	ds_load_b128 v[4:7], v92 offset:1008
	v_add_f64 v[8:9], v[8:9], v[74:75]
	v_add_f64 v[88:89], v[16:17], v[88:89]
	v_mul_f64 v[74:75], v[18:19], s[0:1]
	v_mul_f64 v[24:25], v[24:25], s[0:1]
	;; [unrolled: 1-line block ×4, first 2 shown]
	v_add_f64 v[72:73], v[32:33], -v[46:47]
	v_add_f64 v[84:85], v[34:35], -v[50:51]
	s_waitcnt lgkmcnt(0)
	s_barrier
	buffer_gl0_inv
	v_add_f64 v[0:1], v[0:1], v[26:27]
	v_add_f64 v[2:3], v[2:3], v[28:29]
	v_mul_f64 v[60:61], v[76:77], s[0:1]
	v_add_f64 v[16:17], v[4:5], v[30:31]
	v_add_f64 v[18:19], v[6:7], v[78:79]
	v_mul_f64 v[4:5], v[90:91], s[10:11]
	v_mul_f64 v[6:7], v[10:11], s[10:11]
	v_fma_f64 v[103:104], v[86:87], s[2:3], -v[62:63]
	v_fma_f64 v[105:106], v[12:13], s[18:19], v[62:63]
	v_fma_f64 v[12:13], v[12:13], s[20:21], -v[64:65]
	v_add_f64 v[86:87], v[20:21], -v[58:59]
	v_mul_f64 v[64:65], v[80:81], s[0:1]
	v_mul_f64 v[70:71], v[82:83], s[18:19]
	v_add_f64 v[76:77], v[22:23], -v[54:55]
	v_mul_f64 v[62:63], v[95:96], s[18:19]
	s_mov_b32 s0, 0xaaaaaaaa
	s_mov_b32 s1, 0xbff2aaaa
	v_add_f64 v[82:83], v[97:98], v[56:57]
	v_add_f64 v[80:81], v[99:100], v[52:53]
	v_fma_f64 v[20:21], v[90:91], s[10:11], v[74:75]
	v_fma_f64 v[22:23], v[93:94], s[2:3], -v[101:102]
	v_fma_f64 v[10:11], v[10:11], s[10:11], v[24:25]
	v_fma_f64 v[32:33], v[14:15], s[20:21], -v[107:108]
	v_fma_f64 v[34:35], v[66:67], s[14:15], -v[74:75]
	;; [unrolled: 1-line block ×3, first 2 shown]
	v_fma_f64 v[14:15], v[14:15], s[18:19], v[101:102]
	v_fma_f64 v[26:27], v[26:27], s[0:1], v[0:1]
	;; [unrolled: 1-line block ×5, first 2 shown]
	v_fma_f64 v[4:5], v[66:67], s[12:13], -v[4:5]
	v_fma_f64 v[6:7], v[68:69], s[12:13], -v[6:7]
	v_fma_f64 v[68:69], v[72:73], s[10:11], v[60:61]
	v_fma_f64 v[93:94], v[8:9], s[16:17], v[105:106]
	;; [unrolled: 1-line block ×6, first 2 shown]
	s_mov_b32 s1, exec_lo
	v_fma_f64 v[12:13], v[76:77], s[6:7], v[62:63]
	v_fma_f64 v[22:23], v[88:89], s[16:17], v[22:23]
	;; [unrolled: 1-line block ×4, first 2 shown]
	v_add_f64 v[34:35], v[34:35], v[26:27]
	v_add_f64 v[24:25], v[24:25], v[28:29]
	;; [unrolled: 1-line block ×8, first 2 shown]
	v_fma_f64 v[88:89], v[82:83], s[16:17], v[66:67]
	v_fma_f64 v[66:67], v[80:81], s[16:17], v[12:13]
	v_add_f64 v[12:13], v[34:35], v[32:33]
	v_add_f64 v[14:15], v[24:25], -v[8:9]
	v_add_f64 v[32:33], v[34:35], -v[32:33]
	v_add_f64 v[34:35], v[8:9], v[24:25]
	v_add_f64 v[8:9], v[20:21], v[99:100]
	v_add_f64 v[20:21], v[20:21], -v[99:100]
	v_add_f64 v[4:5], v[30:31], -v[22:23]
	v_add_f64 v[6:7], v[95:96], v[97:98]
	;; [unrolled: 4-line block ×3, first 2 shown]
	ds_store_b128 v37, v[0:3]
	ds_store_b128 v37, v[8:11] offset:16
	ds_store_b128 v37, v[12:15] offset:32
	;; [unrolled: 1-line block ×6, first 2 shown]
	v_add_f64 v[24:25], v[68:69], v[66:67]
	v_add_f64 v[26:27], v[90:91], -v[88:89]
	v_cmpx_gt_u32_e32 9, v36
	s_cbranch_execz .LBB0_19
; %bb.18:
	v_add_f64 v[56:57], v[58:59], -v[56:57]
	v_add_f64 v[48:49], v[50:51], -v[48:49]
	v_mul_f64 v[50:51], v[84:85], s[10:11]
	v_mul_f64 v[58:59], v[86:87], s[6:7]
	v_add_f64 v[44:45], v[46:47], -v[44:45]
	v_add_f64 v[46:47], v[54:55], -v[52:53]
	v_mul_f64 v[52:53], v[72:73], s[10:11]
	v_mul_f64 v[54:55], v[76:77], s[6:7]
	s_mov_b32 s7, 0xbfebfeb5
	s_mov_b32 s6, s2
	v_mul_f64 v[72:73], v[82:83], s[16:17]
	v_mul_f64 v[76:77], v[80:81], s[16:17]
	v_fma_f64 v[70:71], v[56:57], s[6:7], -v[70:71]
	v_fma_f64 v[64:65], v[48:49], s[14:15], -v[64:65]
	v_fma_f64 v[48:49], v[48:49], s[12:13], -v[50:51]
	v_fma_f64 v[50:51], v[56:57], s[2:3], -v[58:59]
	v_fma_f64 v[56:57], v[44:45], s[14:15], -v[60:61]
	v_fma_f64 v[58:59], v[46:47], s[6:7], -v[62:63]
	v_fma_f64 v[44:45], v[44:45], s[12:13], -v[52:53]
	v_fma_f64 v[46:47], v[46:47], s[2:3], -v[54:55]
	v_add_f64 v[52:53], v[72:73], v[70:71]
	v_add_f64 v[60:61], v[64:65], v[78:79]
	;; [unrolled: 1-line block ×10, first 2 shown]
	v_add_f64 v[54:55], v[48:49], -v[62:63]
	v_add_f64 v[58:59], v[62:63], v[48:49]
	v_add_f64 v[62:63], v[60:61], -v[52:53]
	v_add_f64 v[60:61], v[64:65], v[70:71]
	;; [unrolled: 2-line block ×3, first 2 shown]
	v_add_f64 v[48:49], v[64:65], -v[70:71]
	v_add_f64 v[44:45], v[68:69], -v[66:67]
	ds_store_b128 v37, v[16:19] offset:7056
	ds_store_b128 v37, v[24:27] offset:7072
	;; [unrolled: 1-line block ×7, first 2 shown]
.LBB0_19:
	s_or_b32 exec_lo, exec_lo, s1
	v_cmp_gt_u32_e64 s0, 56, v36
	s_waitcnt lgkmcnt(0)
	s_barrier
	buffer_gl0_inv
	s_and_saveexec_b32 s1, s0
	s_cbranch_execz .LBB0_21
; %bb.20:
	v_mad_i32_i24 v24, 0xffffffa0, v36, v37
	ds_load_b128 v[0:3], v92
	ds_load_b128 v[8:11], v92 offset:896
	ds_load_b128 v[12:15], v92 offset:1792
	;; [unrolled: 1-line block ×8, first 2 shown]
.LBB0_21:
	s_or_b32 exec_lo, exec_lo, s1
	s_waitcnt lgkmcnt(0)
	s_barrier
	buffer_gl0_inv
	s_and_saveexec_b32 s6, s0
	s_cbranch_execz .LBB0_23
; %bb.22:
	v_and_b32_e32 v37, 0xff, v36
	s_mov_b32 s0, 0x8c811c17
	s_mov_b32 s1, 0x3fef838b
	;; [unrolled: 1-line block ×4, first 2 shown]
	v_mul_lo_u16 v37, v37, 37
	s_mov_b32 s3, 0xbfe491b7
	s_mov_b32 s2, 0x523c161c
	;; [unrolled: 1-line block ×4, first 2 shown]
	v_lshrrev_b16 v37, 8, v37
	s_delay_alu instid0(VALU_DEP_1) | instskip(NEXT) | instid1(VALU_DEP_1)
	v_sub_nc_u16 v44, v36, v37
	v_lshrrev_b16 v44, 1, v44
	s_delay_alu instid0(VALU_DEP_1) | instskip(NEXT) | instid1(VALU_DEP_1)
	v_and_b32_e32 v44, 0x7f, v44
	v_add_nc_u16 v37, v44, v37
	s_delay_alu instid0(VALU_DEP_1) | instskip(NEXT) | instid1(VALU_DEP_1)
	v_lshrrev_b16 v37, 2, v37
	v_mul_lo_u16 v44, v37, 7
	v_and_b32_e32 v37, 0xffff, v37
	s_delay_alu instid0(VALU_DEP_2) | instskip(NEXT) | instid1(VALU_DEP_2)
	v_sub_nc_u16 v44, v36, v44
	v_mul_u32_u24_e32 v37, 0x3f0, v37
	s_delay_alu instid0(VALU_DEP_2) | instskip(NEXT) | instid1(VALU_DEP_1)
	v_and_b32_e32 v93, 0xff, v44
	v_lshlrev_b32_e32 v72, 7, v93
	s_clause 0x7
	global_load_b128 v[44:47], v72, s[4:5] offset:48
	global_load_b128 v[48:51], v72, s[4:5] offset:64
	;; [unrolled: 1-line block ×4, first 2 shown]
	global_load_b128 v[60:63], v72, s[4:5]
	global_load_b128 v[64:67], v72, s[4:5] offset:112
	global_load_b128 v[68:71], v72, s[4:5] offset:32
	;; [unrolled: 1-line block ×3, first 2 shown]
	s_waitcnt vmcnt(7)
	v_mul_f64 v[76:77], v[30:31], v[46:47]
	s_waitcnt vmcnt(6)
	v_mul_f64 v[78:79], v[34:35], v[50:51]
	v_mul_f64 v[46:47], v[28:29], v[46:47]
	;; [unrolled: 1-line block ×3, first 2 shown]
	s_waitcnt vmcnt(5)
	v_mul_f64 v[80:81], v[14:15], v[54:55]
	v_mul_f64 v[54:55], v[12:13], v[54:55]
	s_waitcnt vmcnt(4)
	v_mul_f64 v[82:83], v[16:17], v[58:59]
	v_mul_f64 v[58:59], v[18:19], v[58:59]
	s_waitcnt vmcnt(3)
	v_mul_f64 v[84:85], v[8:9], v[62:63]
	s_waitcnt vmcnt(2)
	v_mul_f64 v[86:87], v[24:25], v[66:67]
	v_fma_f64 v[28:29], v[28:29], v[44:45], -v[76:77]
	v_fma_f64 v[32:33], v[32:33], v[48:49], -v[78:79]
	v_fma_f64 v[30:31], v[30:31], v[44:45], v[46:47]
	v_fma_f64 v[34:35], v[34:35], v[48:49], v[50:51]
	v_mul_f64 v[44:45], v[10:11], v[62:63]
	v_mul_f64 v[46:47], v[26:27], v[66:67]
	v_fma_f64 v[12:13], v[12:13], v[52:53], -v[80:81]
	v_fma_f64 v[14:15], v[14:15], v[52:53], v[54:55]
	v_fma_f64 v[18:19], v[18:19], v[56:57], v[82:83]
	v_fma_f64 v[16:17], v[16:17], v[56:57], -v[58:59]
	v_fma_f64 v[10:11], v[10:11], v[60:61], v[84:85]
	v_fma_f64 v[26:27], v[26:27], v[64:65], v[86:87]
	s_waitcnt vmcnt(1)
	v_mul_f64 v[52:53], v[6:7], v[70:71]
	s_waitcnt vmcnt(0)
	v_mul_f64 v[54:55], v[22:23], v[74:75]
	v_add_f64 v[48:49], v[28:29], -v[32:33]
	v_add_f64 v[62:63], v[28:29], v[32:33]
	v_add_f64 v[50:51], v[30:31], -v[34:35]
	v_fma_f64 v[8:9], v[8:9], v[60:61], -v[44:45]
	v_fma_f64 v[24:25], v[24:25], v[64:65], -v[46:47]
	v_mul_f64 v[44:45], v[4:5], v[70:71]
	v_mul_f64 v[46:47], v[20:21], v[74:75]
	v_add_f64 v[56:57], v[14:15], v[18:19]
	v_add_f64 v[58:59], v[12:13], v[16:17]
	v_add_f64 v[12:13], v[12:13], -v[16:17]
	v_add_f64 v[14:15], v[14:15], -v[18:19]
	v_add_f64 v[16:17], v[30:31], v[34:35]
	v_add_f64 v[60:61], v[10:11], v[26:27]
	v_add_f64 v[10:11], v[10:11], -v[26:27]
	v_fma_f64 v[4:5], v[4:5], v[68:69], -v[52:53]
	v_fma_f64 v[20:21], v[20:21], v[72:73], -v[54:55]
	v_mul_f64 v[18:19], v[48:49], s[0:1]
	v_fma_f64 v[54:55], v[62:63], s[10:11], v[0:1]
	v_mul_f64 v[64:65], v[50:51], s[0:1]
	v_mul_f64 v[52:53], v[50:51], s[2:3]
	v_add_f64 v[66:67], v[8:9], v[24:25]
	v_add_f64 v[8:9], v[8:9], -v[24:25]
	v_fma_f64 v[6:7], v[6:7], v[68:69], v[44:45]
	v_fma_f64 v[22:23], v[22:23], v[72:73], v[46:47]
	;; [unrolled: 1-line block ×4, first 2 shown]
	v_mul_f64 v[44:45], v[48:49], s[2:3]
	v_fma_f64 v[46:47], v[16:17], s[10:11], v[2:3]
	v_fma_f64 v[68:69], v[60:61], s[10:11], v[2:3]
	v_add_f64 v[80:81], v[56:57], v[60:61]
	v_add_f64 v[84:85], v[50:51], v[10:11]
	;; [unrolled: 1-line block ×3, first 2 shown]
	v_add_f64 v[4:5], v[4:5], -v[20:21]
	v_fma_f64 v[18:19], v[12:13], s[2:3], -v[18:19]
	v_fma_f64 v[64:65], v[14:15], s[2:3], -v[64:65]
	s_mov_b32 s3, 0x3fe491b7
	v_fma_f64 v[70:71], v[66:67], s[10:11], v[0:1]
	v_mul_f64 v[72:73], v[8:9], s[2:3]
	v_mul_f64 v[74:75], v[10:11], s[2:3]
	v_add_f64 v[76:77], v[6:7], v[22:23]
	v_add_f64 v[82:83], v[58:59], v[66:67]
	s_mov_b32 s2, 0x7e0b738b
	s_mov_b32 s3, 0x3fc63a1a
	v_add_f64 v[6:7], v[6:7], -v[22:23]
	v_fma_f64 v[20:21], v[16:17], s[2:3], v[24:25]
	v_fma_f64 v[22:23], v[62:63], s[2:3], v[26:27]
	;; [unrolled: 1-line block ×7, first 2 shown]
	v_add_f64 v[86:87], v[0:1], v[78:79]
	s_mov_b32 s10, 0x748a0bf8
	s_mov_b32 s11, 0x3fd5e3a8
	v_fma_f64 v[54:55], v[58:59], s[2:3], v[70:71]
	v_fma_f64 v[68:69], v[12:13], s[0:1], v[72:73]
	;; [unrolled: 1-line block ×3, first 2 shown]
	v_add_f64 v[88:89], v[76:77], v[80:81]
	v_add_f64 v[90:91], v[78:79], v[82:83]
	s_mov_b32 s0, 0xe8584cab
	s_mov_b32 s1, 0x3febb67a
	;; [unrolled: 1-line block ×4, first 2 shown]
	v_add_f64 v[72:73], v[48:49], v[8:9]
	v_add_f64 v[74:75], v[2:3], v[76:77]
	;; [unrolled: 1-line block ×4, first 2 shown]
	v_fma_f64 v[18:19], v[4:5], s[0:1], v[18:19]
	v_fma_f64 v[20:21], v[76:77], -0.5, v[20:21]
	v_fma_f64 v[64:65], v[6:7], s[0:1], v[64:65]
	v_fma_f64 v[22:23], v[78:79], -0.5, v[22:23]
	;; [unrolled: 2-line block ×4, first 2 shown]
	v_fma_f64 v[52:53], v[76:77], -0.5, v[52:53]
	v_fma_f64 v[54:55], v[78:79], -0.5, v[54:55]
	v_fma_f64 v[4:5], v[4:5], s[0:1], v[68:69]
	v_fma_f64 v[6:7], v[6:7], s[0:1], v[70:71]
	v_add_f64 v[30:31], v[30:31], v[88:89]
	v_add_f64 v[28:29], v[28:29], v[90:91]
	v_add_f64 v[70:71], v[84:85], -v[14:15]
	v_add_f64 v[68:69], v[72:73], -v[12:13]
	v_fma_f64 v[72:73], v[80:81], -0.5, v[74:75]
	v_fma_f64 v[74:75], v[82:83], -0.5, v[86:87]
	v_fma_f64 v[76:77], v[8:9], s[10:11], v[18:19]
	v_fma_f64 v[8:9], v[60:61], s[12:13], v[20:21]
	;; [unrolled: 1-line block ×12, first 2 shown]
	v_add_f64 v[30:31], v[34:35], v[30:31]
	v_add_f64 v[28:29], v[32:33], v[28:29]
	v_mul_f64 v[26:27], v[70:71], s[0:1]
	v_mul_f64 v[24:25], v[68:69], s[0:1]
	v_fma_f64 v[6:7], v[68:69], s[2:3], v[72:73]
	v_fma_f64 v[4:5], v[70:71], s[0:1], v[74:75]
	v_add_f64 v[10:11], v[8:9], -v[76:77]
	v_add_f64 v[8:9], v[60:61], v[18:19]
	v_add_f64 v[14:15], v[12:13], -v[64:65]
	v_add_f64 v[12:13], v[44:45], v[20:21]
	;; [unrolled: 2-line block ×3, first 2 shown]
	v_add_f64 v[2:3], v[2:3], v[30:31]
	v_add_f64 v[0:1], v[0:1], v[28:29]
	v_fma_f64 v[22:23], v[24:25], 2.0, v[6:7]
	v_fma_f64 v[20:21], v[26:27], -2.0, v[4:5]
	v_fma_f64 v[26:27], v[76:77], 2.0, v[10:11]
	v_fma_f64 v[24:25], v[60:61], -2.0, v[8:9]
	;; [unrolled: 2-line block ×3, first 2 shown]
	v_lshlrev_b32_e32 v44, 4, v93
	s_delay_alu instid0(VALU_DEP_1)
	v_add3_u32 v37, 0, v37, v44
	v_fma_f64 v[34:35], v[46:47], 2.0, v[18:19]
	v_fma_f64 v[32:33], v[48:49], -2.0, v[16:17]
	ds_store_b128 v37, v[0:3]
	ds_store_b128 v37, v[16:19] offset:112
	ds_store_b128 v37, v[12:15] offset:224
	;; [unrolled: 1-line block ×8, first 2 shown]
.LBB0_23:
	s_or_b32 exec_lo, exec_lo, s6
	v_mul_u32_u24_e32 v0, 3, v36
	s_waitcnt lgkmcnt(0)
	s_barrier
	buffer_gl0_inv
	v_lshlrev_b32_e32 v8, 4, v0
	s_clause 0x2
	global_load_b128 v[0:3], v8, s[4:5] offset:896
	global_load_b128 v[4:7], v8, s[4:5] offset:912
	;; [unrolled: 1-line block ×3, first 2 shown]
	ds_load_b128 v[12:15], v92 offset:2016
	ds_load_b128 v[16:19], v92 offset:4032
	;; [unrolled: 1-line block ×6, first 2 shown]
	s_waitcnt vmcnt(2) lgkmcnt(5)
	v_mul_f64 v[44:45], v[14:15], v[2:3]
	v_mul_f64 v[46:47], v[12:13], v[2:3]
	s_waitcnt vmcnt(1) lgkmcnt(4)
	v_mul_f64 v[48:49], v[18:19], v[6:7]
	v_mul_f64 v[50:51], v[16:17], v[6:7]
	;; [unrolled: 3-line block ×3, first 2 shown]
	s_waitcnt lgkmcnt(2)
	v_mul_f64 v[56:57], v[26:27], v[2:3]
	v_mul_f64 v[2:3], v[24:25], v[2:3]
	s_waitcnt lgkmcnt(1)
	v_mul_f64 v[58:59], v[30:31], v[6:7]
	v_mul_f64 v[6:7], v[28:29], v[6:7]
	;; [unrolled: 3-line block ×3, first 2 shown]
	v_fma_f64 v[12:13], v[12:13], v[0:1], -v[44:45]
	v_fma_f64 v[14:15], v[14:15], v[0:1], v[46:47]
	v_fma_f64 v[16:17], v[16:17], v[4:5], -v[48:49]
	v_fma_f64 v[18:19], v[18:19], v[4:5], v[50:51]
	;; [unrolled: 2-line block ×6, first 2 shown]
	ds_load_b128 v[0:3], v92
	ds_load_b128 v[4:7], v92 offset:1008
	s_waitcnt lgkmcnt(0)
	s_barrier
	buffer_gl0_inv
	v_add_f64 v[16:17], v[0:1], -v[16:17]
	v_add_f64 v[18:19], v[2:3], -v[18:19]
	;; [unrolled: 1-line block ×8, first 2 shown]
	v_fma_f64 v[30:31], v[0:1], 2.0, -v[16:17]
	v_fma_f64 v[32:33], v[2:3], 2.0, -v[18:19]
	;; [unrolled: 1-line block ×4, first 2 shown]
	v_add_f64 v[2:3], v[18:19], v[10:11]
	v_add_f64 v[0:1], v[16:17], -v[20:21]
	v_fma_f64 v[44:45], v[4:5], 2.0, -v[22:23]
	v_fma_f64 v[46:47], v[6:7], 2.0, -v[34:35]
	;; [unrolled: 1-line block ×4, first 2 shown]
	v_add_f64 v[4:5], v[22:23], -v[8:9]
	v_add_f64 v[8:9], v[30:31], -v[12:13]
	;; [unrolled: 1-line block ×3, first 2 shown]
	v_fma_f64 v[18:19], v[18:19], 2.0, -v[2:3]
	v_fma_f64 v[16:17], v[16:17], 2.0, -v[0:1]
	v_add_f64 v[12:13], v[44:45], -v[6:7]
	v_add_f64 v[14:15], v[46:47], -v[24:25]
	v_add_f64 v[6:7], v[34:35], v[28:29]
	v_fma_f64 v[20:21], v[22:23], 2.0, -v[4:5]
	v_fma_f64 v[24:25], v[30:31], 2.0, -v[8:9]
	;; [unrolled: 1-line block ×6, first 2 shown]
	v_add_co_u32 v34, s0, s4, v42
	s_delay_alu instid0(VALU_DEP_1) | instskip(SKIP_1) | instid1(VALU_DEP_1)
	v_add_co_ci_u32_e64 v35, s0, s5, v43, s0
	v_add_co_u32 v32, s0, s4, v40
	v_add_co_ci_u32_e64 v33, s0, s5, v41, s0
	s_delay_alu instid0(VALU_DEP_4) | instskip(NEXT) | instid1(VALU_DEP_1)
	v_add_co_u32 v34, s0, 0x1000, v34
	v_add_co_ci_u32_e64 v35, s0, 0, v35, s0
	ds_store_b128 v92, v[8:11] offset:2016
	ds_store_b128 v92, v[0:3] offset:3024
	;; [unrolled: 1-line block ×4, first 2 shown]
	ds_store_b128 v92, v[24:27]
	ds_store_b128 v92, v[16:19] offset:1008
	ds_store_b128 v92, v[28:31] offset:4032
	;; [unrolled: 1-line block ×3, first 2 shown]
	s_waitcnt lgkmcnt(0)
	s_barrier
	buffer_gl0_inv
	s_clause 0x3
	global_load_b128 v[0:3], v[32:33], off offset:3920
	global_load_b128 v[4:7], v[34:35], off offset:832
	;; [unrolled: 1-line block ×4, first 2 shown]
	ds_load_b128 v[16:19], v92 offset:4032
	ds_load_b128 v[20:23], v92 offset:5040
	;; [unrolled: 1-line block ×4, first 2 shown]
	s_waitcnt vmcnt(3) lgkmcnt(3)
	v_mul_f64 v[32:33], v[18:19], v[2:3]
	v_mul_f64 v[2:3], v[16:17], v[2:3]
	s_waitcnt vmcnt(2) lgkmcnt(2)
	v_mul_f64 v[34:35], v[22:23], v[6:7]
	v_mul_f64 v[6:7], v[20:21], v[6:7]
	;; [unrolled: 3-line block ×4, first 2 shown]
	v_fma_f64 v[16:17], v[16:17], v[0:1], -v[32:33]
	v_fma_f64 v[18:19], v[18:19], v[0:1], v[2:3]
	v_fma_f64 v[20:21], v[20:21], v[4:5], -v[34:35]
	v_fma_f64 v[22:23], v[22:23], v[4:5], v[6:7]
	;; [unrolled: 2-line block ×4, first 2 shown]
	ds_load_b128 v[0:3], v92
	ds_load_b128 v[4:7], v92 offset:1008
	ds_load_b128 v[8:11], v92 offset:2016
	;; [unrolled: 1-line block ×3, first 2 shown]
	s_waitcnt lgkmcnt(0)
	s_barrier
	buffer_gl0_inv
	v_add_f64 v[16:17], v[0:1], -v[16:17]
	v_add_f64 v[18:19], v[2:3], -v[18:19]
	;; [unrolled: 1-line block ×8, first 2 shown]
	v_fma_f64 v[0:1], v[0:1], 2.0, -v[16:17]
	v_fma_f64 v[2:3], v[2:3], 2.0, -v[18:19]
	;; [unrolled: 1-line block ×8, first 2 shown]
	ds_store_b128 v92, v[16:19] offset:4032
	ds_store_b128 v92, v[20:23] offset:5040
	ds_store_b128 v92, v[24:27] offset:6048
	ds_store_b128 v92, v[28:31] offset:7056
	ds_store_b128 v92, v[0:3]
	ds_store_b128 v92, v[4:7] offset:1008
	ds_store_b128 v92, v[8:11] offset:2016
	ds_store_b128 v92, v[12:15] offset:3024
	s_waitcnt lgkmcnt(0)
	s_barrier
	buffer_gl0_inv
	s_and_saveexec_b32 s0, vcc_lo
	s_cbranch_execz .LBB0_25
; %bb.24:
	v_lshl_add_u32 v20, v36, 4, 0
	v_dual_mov_b32 v37, 0 :: v_dual_add_nc_u32 v8, 63, v36
	v_add_co_u32 v38, vcc_lo, s8, v38
	ds_load_b128 v[0:3], v20
	ds_load_b128 v[4:7], v20 offset:1008
	v_dual_mov_b32 v9, v37 :: v_dual_add_nc_u32 v12, 0x7e, v36
	v_lshlrev_b64 v[10:11], 4, v[36:37]
	v_add_co_ci_u32_e32 v39, vcc_lo, s9, v39, vcc_lo
	s_delay_alu instid0(VALU_DEP_3) | instskip(SKIP_1) | instid1(VALU_DEP_4)
	v_lshlrev_b64 v[8:9], 4, v[8:9]
	v_dual_mov_b32 v13, v37 :: v_dual_add_nc_u32 v14, 0xbd, v36
	v_add_co_u32 v10, vcc_lo, v38, v10
	s_delay_alu instid0(VALU_DEP_4) | instskip(NEXT) | instid1(VALU_DEP_4)
	v_add_co_ci_u32_e32 v11, vcc_lo, v39, v11, vcc_lo
	v_add_co_u32 v8, vcc_lo, v38, v8
	v_mov_b32_e32 v15, v37
	v_add_co_ci_u32_e32 v9, vcc_lo, v39, v9, vcc_lo
	v_lshlrev_b64 v[12:13], 4, v[12:13]
	v_dual_mov_b32 v17, v37 :: v_dual_add_nc_u32 v18, 0x17a, v36
	s_waitcnt lgkmcnt(1)
	global_store_b128 v[10:11], v[0:3], off
	s_waitcnt lgkmcnt(0)
	global_store_b128 v[8:9], v[4:7], off
	v_add_nc_u32_e32 v10, 0xfc, v36
	v_lshlrev_b64 v[8:9], 4, v[14:15]
	v_add_co_u32 v24, vcc_lo, v38, v12
	v_dual_mov_b32 v11, v37 :: v_dual_add_nc_u32 v16, 0x13b, v36
	v_add_co_ci_u32_e32 v25, vcc_lo, v39, v13, vcc_lo
	s_delay_alu instid0(VALU_DEP_4) | instskip(SKIP_1) | instid1(VALU_DEP_4)
	v_add_co_u32 v26, vcc_lo, v38, v8
	v_add_co_ci_u32_e32 v27, vcc_lo, v39, v9, vcc_lo
	v_lshlrev_b64 v[8:9], 4, v[10:11]
	v_dual_mov_b32 v19, v37 :: v_dual_add_nc_u32 v36, 0x1b9, v36
	ds_load_b128 v[0:3], v20 offset:2016
	ds_load_b128 v[4:7], v20 offset:3024
	v_lshlrev_b64 v[30:31], 4, v[16:17]
	v_add_co_u32 v28, vcc_lo, v38, v8
	v_add_co_ci_u32_e32 v29, vcc_lo, v39, v9, vcc_lo
	ds_load_b128 v[8:11], v20 offset:4032
	ds_load_b128 v[12:15], v20 offset:5040
	v_lshlrev_b64 v[32:33], 4, v[18:19]
	ds_load_b128 v[16:19], v20 offset:6048
	ds_load_b128 v[20:23], v20 offset:7056
	v_add_co_u32 v30, vcc_lo, v38, v30
	v_lshlrev_b64 v[34:35], 4, v[36:37]
	v_add_co_ci_u32_e32 v31, vcc_lo, v39, v31, vcc_lo
	v_add_co_u32 v32, vcc_lo, v38, v32
	v_add_co_ci_u32_e32 v33, vcc_lo, v39, v33, vcc_lo
	s_delay_alu instid0(VALU_DEP_4)
	v_add_co_u32 v34, vcc_lo, v38, v34
	v_add_co_ci_u32_e32 v35, vcc_lo, v39, v35, vcc_lo
	s_waitcnt lgkmcnt(5)
	global_store_b128 v[24:25], v[0:3], off
	s_waitcnt lgkmcnt(4)
	global_store_b128 v[26:27], v[4:7], off
	;; [unrolled: 2-line block ×6, first 2 shown]
.LBB0_25:
	s_nop 0
	s_sendmsg sendmsg(MSG_DEALLOC_VGPRS)
	s_endpgm
	.section	.rodata,"a",@progbits
	.p2align	6, 0x0
	.amdhsa_kernel fft_rtc_fwd_len504_factors_7_9_4_2_wgs_63_tpt_63_dp_ip_CI_unitstride_sbrr_C2R_dirReg
		.amdhsa_group_segment_fixed_size 0
		.amdhsa_private_segment_fixed_size 0
		.amdhsa_kernarg_size 88
		.amdhsa_user_sgpr_count 15
		.amdhsa_user_sgpr_dispatch_ptr 0
		.amdhsa_user_sgpr_queue_ptr 0
		.amdhsa_user_sgpr_kernarg_segment_ptr 1
		.amdhsa_user_sgpr_dispatch_id 0
		.amdhsa_user_sgpr_private_segment_size 0
		.amdhsa_wavefront_size32 1
		.amdhsa_uses_dynamic_stack 0
		.amdhsa_enable_private_segment 0
		.amdhsa_system_sgpr_workgroup_id_x 1
		.amdhsa_system_sgpr_workgroup_id_y 0
		.amdhsa_system_sgpr_workgroup_id_z 0
		.amdhsa_system_sgpr_workgroup_info 0
		.amdhsa_system_vgpr_workitem_id 0
		.amdhsa_next_free_vgpr 109
		.amdhsa_next_free_sgpr 22
		.amdhsa_reserve_vcc 1
		.amdhsa_float_round_mode_32 0
		.amdhsa_float_round_mode_16_64 0
		.amdhsa_float_denorm_mode_32 3
		.amdhsa_float_denorm_mode_16_64 3
		.amdhsa_dx10_clamp 1
		.amdhsa_ieee_mode 1
		.amdhsa_fp16_overflow 0
		.amdhsa_workgroup_processor_mode 1
		.amdhsa_memory_ordered 1
		.amdhsa_forward_progress 0
		.amdhsa_shared_vgpr_count 0
		.amdhsa_exception_fp_ieee_invalid_op 0
		.amdhsa_exception_fp_denorm_src 0
		.amdhsa_exception_fp_ieee_div_zero 0
		.amdhsa_exception_fp_ieee_overflow 0
		.amdhsa_exception_fp_ieee_underflow 0
		.amdhsa_exception_fp_ieee_inexact 0
		.amdhsa_exception_int_div_zero 0
	.end_amdhsa_kernel
	.text
.Lfunc_end0:
	.size	fft_rtc_fwd_len504_factors_7_9_4_2_wgs_63_tpt_63_dp_ip_CI_unitstride_sbrr_C2R_dirReg, .Lfunc_end0-fft_rtc_fwd_len504_factors_7_9_4_2_wgs_63_tpt_63_dp_ip_CI_unitstride_sbrr_C2R_dirReg
                                        ; -- End function
	.section	.AMDGPU.csdata,"",@progbits
; Kernel info:
; codeLenInByte = 7640
; NumSgprs: 24
; NumVgprs: 109
; ScratchSize: 0
; MemoryBound: 0
; FloatMode: 240
; IeeeMode: 1
; LDSByteSize: 0 bytes/workgroup (compile time only)
; SGPRBlocks: 2
; VGPRBlocks: 13
; NumSGPRsForWavesPerEU: 24
; NumVGPRsForWavesPerEU: 109
; Occupancy: 12
; WaveLimiterHint : 1
; COMPUTE_PGM_RSRC2:SCRATCH_EN: 0
; COMPUTE_PGM_RSRC2:USER_SGPR: 15
; COMPUTE_PGM_RSRC2:TRAP_HANDLER: 0
; COMPUTE_PGM_RSRC2:TGID_X_EN: 1
; COMPUTE_PGM_RSRC2:TGID_Y_EN: 0
; COMPUTE_PGM_RSRC2:TGID_Z_EN: 0
; COMPUTE_PGM_RSRC2:TIDIG_COMP_CNT: 0
	.text
	.p2alignl 7, 3214868480
	.fill 96, 4, 3214868480
	.type	__hip_cuid_8e415077236fa262,@object ; @__hip_cuid_8e415077236fa262
	.section	.bss,"aw",@nobits
	.globl	__hip_cuid_8e415077236fa262
__hip_cuid_8e415077236fa262:
	.byte	0                               ; 0x0
	.size	__hip_cuid_8e415077236fa262, 1

	.ident	"AMD clang version 19.0.0git (https://github.com/RadeonOpenCompute/llvm-project roc-6.4.0 25133 c7fe45cf4b819c5991fe208aaa96edf142730f1d)"
	.section	".note.GNU-stack","",@progbits
	.addrsig
	.addrsig_sym __hip_cuid_8e415077236fa262
	.amdgpu_metadata
---
amdhsa.kernels:
  - .args:
      - .actual_access:  read_only
        .address_space:  global
        .offset:         0
        .size:           8
        .value_kind:     global_buffer
      - .offset:         8
        .size:           8
        .value_kind:     by_value
      - .actual_access:  read_only
        .address_space:  global
        .offset:         16
        .size:           8
        .value_kind:     global_buffer
      - .actual_access:  read_only
        .address_space:  global
        .offset:         24
        .size:           8
        .value_kind:     global_buffer
      - .offset:         32
        .size:           8
        .value_kind:     by_value
      - .actual_access:  read_only
        .address_space:  global
        .offset:         40
        .size:           8
        .value_kind:     global_buffer
      - .actual_access:  read_only
        .address_space:  global
        .offset:         48
        .size:           8
        .value_kind:     global_buffer
      - .offset:         56
        .size:           4
        .value_kind:     by_value
      - .actual_access:  read_only
        .address_space:  global
        .offset:         64
        .size:           8
        .value_kind:     global_buffer
      - .actual_access:  read_only
        .address_space:  global
        .offset:         72
        .size:           8
        .value_kind:     global_buffer
      - .address_space:  global
        .offset:         80
        .size:           8
        .value_kind:     global_buffer
    .group_segment_fixed_size: 0
    .kernarg_segment_align: 8
    .kernarg_segment_size: 88
    .language:       OpenCL C
    .language_version:
      - 2
      - 0
    .max_flat_workgroup_size: 63
    .name:           fft_rtc_fwd_len504_factors_7_9_4_2_wgs_63_tpt_63_dp_ip_CI_unitstride_sbrr_C2R_dirReg
    .private_segment_fixed_size: 0
    .sgpr_count:     24
    .sgpr_spill_count: 0
    .symbol:         fft_rtc_fwd_len504_factors_7_9_4_2_wgs_63_tpt_63_dp_ip_CI_unitstride_sbrr_C2R_dirReg.kd
    .uniform_work_group_size: 1
    .uses_dynamic_stack: false
    .vgpr_count:     109
    .vgpr_spill_count: 0
    .wavefront_size: 32
    .workgroup_processor_mode: 1
amdhsa.target:   amdgcn-amd-amdhsa--gfx1100
amdhsa.version:
  - 1
  - 2
...

	.end_amdgpu_metadata
